;; amdgpu-corpus repo=ROCm/rocFFT kind=compiled arch=gfx1201 opt=O3
	.text
	.amdgcn_target "amdgcn-amd-amdhsa--gfx1201"
	.amdhsa_code_object_version 6
	.protected	fft_rtc_back_len1664_factors_13_2_2_4_2_2_2_wgs_208_tpt_208_halfLds_dp_op_CI_CI_unitstride_sbrr_R2C_dirReg ; -- Begin function fft_rtc_back_len1664_factors_13_2_2_4_2_2_2_wgs_208_tpt_208_halfLds_dp_op_CI_CI_unitstride_sbrr_R2C_dirReg
	.globl	fft_rtc_back_len1664_factors_13_2_2_4_2_2_2_wgs_208_tpt_208_halfLds_dp_op_CI_CI_unitstride_sbrr_R2C_dirReg
	.p2align	8
	.type	fft_rtc_back_len1664_factors_13_2_2_4_2_2_2_wgs_208_tpt_208_halfLds_dp_op_CI_CI_unitstride_sbrr_R2C_dirReg,@function
fft_rtc_back_len1664_factors_13_2_2_4_2_2_2_wgs_208_tpt_208_halfLds_dp_op_CI_CI_unitstride_sbrr_R2C_dirReg: ; @fft_rtc_back_len1664_factors_13_2_2_4_2_2_2_wgs_208_tpt_208_halfLds_dp_op_CI_CI_unitstride_sbrr_R2C_dirReg
; %bb.0:
	s_clause 0x2
	s_load_b128 s[8:11], s[0:1], 0x0
	s_load_b128 s[4:7], s[0:1], 0x58
	;; [unrolled: 1-line block ×3, first 2 shown]
	v_mul_u32_u24_e32 v1, 0x13c, v0
	v_mov_b32_e32 v3, 0
	s_delay_alu instid0(VALU_DEP_2) | instskip(NEXT) | instid1(VALU_DEP_1)
	v_lshrrev_b32_e32 v1, 16, v1
	v_add_nc_u32_e32 v5, ttmp9, v1
	v_mov_b32_e32 v1, 0
	v_mov_b32_e32 v2, 0
	;; [unrolled: 1-line block ×3, first 2 shown]
	s_wait_kmcnt 0x0
	v_cmp_lt_u64_e64 s2, s[10:11], 2
	s_delay_alu instid0(VALU_DEP_1)
	s_and_b32 vcc_lo, exec_lo, s2
	s_cbranch_vccnz .LBB0_8
; %bb.1:
	s_load_b64 s[2:3], s[0:1], 0x10
	v_mov_b32_e32 v1, 0
	v_mov_b32_e32 v2, 0
	s_add_nc_u64 s[16:17], s[14:15], 8
	s_add_nc_u64 s[18:19], s[12:13], 8
	s_mov_b64 s[20:21], 1
	s_delay_alu instid0(VALU_DEP_1)
	v_dual_mov_b32 v53, v2 :: v_dual_mov_b32 v52, v1
	s_wait_kmcnt 0x0
	s_add_nc_u64 s[22:23], s[2:3], 8
	s_mov_b32 s3, 0
.LBB0_2:                                ; =>This Inner Loop Header: Depth=1
	s_load_b64 s[24:25], s[22:23], 0x0
                                        ; implicit-def: $vgpr56_vgpr57
	s_mov_b32 s2, exec_lo
	s_wait_kmcnt 0x0
	v_or_b32_e32 v4, s25, v6
	s_delay_alu instid0(VALU_DEP_1)
	v_cmpx_ne_u64_e32 0, v[3:4]
	s_wait_alu 0xfffe
	s_xor_b32 s26, exec_lo, s2
	s_cbranch_execz .LBB0_4
; %bb.3:                                ;   in Loop: Header=BB0_2 Depth=1
	s_cvt_f32_u32 s2, s24
	s_cvt_f32_u32 s27, s25
	s_sub_nc_u64 s[30:31], 0, s[24:25]
	s_wait_alu 0xfffe
	s_delay_alu instid0(SALU_CYCLE_1) | instskip(SKIP_1) | instid1(SALU_CYCLE_2)
	s_fmamk_f32 s2, s27, 0x4f800000, s2
	s_wait_alu 0xfffe
	v_s_rcp_f32 s2, s2
	s_delay_alu instid0(TRANS32_DEP_1) | instskip(SKIP_1) | instid1(SALU_CYCLE_2)
	s_mul_f32 s2, s2, 0x5f7ffffc
	s_wait_alu 0xfffe
	s_mul_f32 s27, s2, 0x2f800000
	s_wait_alu 0xfffe
	s_delay_alu instid0(SALU_CYCLE_2) | instskip(SKIP_1) | instid1(SALU_CYCLE_2)
	s_trunc_f32 s27, s27
	s_wait_alu 0xfffe
	s_fmamk_f32 s2, s27, 0xcf800000, s2
	s_cvt_u32_f32 s29, s27
	s_wait_alu 0xfffe
	s_delay_alu instid0(SALU_CYCLE_1) | instskip(SKIP_1) | instid1(SALU_CYCLE_2)
	s_cvt_u32_f32 s28, s2
	s_wait_alu 0xfffe
	s_mul_u64 s[34:35], s[30:31], s[28:29]
	s_wait_alu 0xfffe
	s_mul_hi_u32 s37, s28, s35
	s_mul_i32 s36, s28, s35
	s_mul_hi_u32 s2, s28, s34
	s_mul_i32 s33, s29, s34
	s_wait_alu 0xfffe
	s_add_nc_u64 s[36:37], s[2:3], s[36:37]
	s_mul_hi_u32 s27, s29, s34
	s_mul_hi_u32 s38, s29, s35
	s_add_co_u32 s2, s36, s33
	s_wait_alu 0xfffe
	s_add_co_ci_u32 s2, s37, s27
	s_mul_i32 s34, s29, s35
	s_add_co_ci_u32 s35, s38, 0
	s_wait_alu 0xfffe
	s_add_nc_u64 s[34:35], s[2:3], s[34:35]
	s_wait_alu 0xfffe
	v_add_co_u32 v4, s2, s28, s34
	s_delay_alu instid0(VALU_DEP_1) | instskip(SKIP_1) | instid1(VALU_DEP_1)
	s_cmp_lg_u32 s2, 0
	s_add_co_ci_u32 s29, s29, s35
	v_readfirstlane_b32 s28, v4
	s_wait_alu 0xfffe
	s_delay_alu instid0(VALU_DEP_1)
	s_mul_u64 s[30:31], s[30:31], s[28:29]
	s_wait_alu 0xfffe
	s_mul_hi_u32 s35, s28, s31
	s_mul_i32 s34, s28, s31
	s_mul_hi_u32 s2, s28, s30
	s_mul_i32 s33, s29, s30
	s_wait_alu 0xfffe
	s_add_nc_u64 s[34:35], s[2:3], s[34:35]
	s_mul_hi_u32 s27, s29, s30
	s_mul_hi_u32 s28, s29, s31
	s_wait_alu 0xfffe
	s_add_co_u32 s2, s34, s33
	s_add_co_ci_u32 s2, s35, s27
	s_mul_i32 s30, s29, s31
	s_add_co_ci_u32 s31, s28, 0
	s_wait_alu 0xfffe
	s_add_nc_u64 s[30:31], s[2:3], s[30:31]
	s_wait_alu 0xfffe
	v_add_co_u32 v4, s2, v4, s30
	s_delay_alu instid0(VALU_DEP_1) | instskip(SKIP_1) | instid1(VALU_DEP_1)
	s_cmp_lg_u32 s2, 0
	s_add_co_ci_u32 s2, s29, s31
	v_mul_hi_u32 v13, v5, v4
	s_wait_alu 0xfffe
	v_mad_co_u64_u32 v[7:8], null, v5, s2, 0
	v_mad_co_u64_u32 v[9:10], null, v6, v4, 0
	;; [unrolled: 1-line block ×3, first 2 shown]
	s_delay_alu instid0(VALU_DEP_3) | instskip(SKIP_1) | instid1(VALU_DEP_4)
	v_add_co_u32 v4, vcc_lo, v13, v7
	s_wait_alu 0xfffd
	v_add_co_ci_u32_e32 v7, vcc_lo, 0, v8, vcc_lo
	s_delay_alu instid0(VALU_DEP_2) | instskip(SKIP_1) | instid1(VALU_DEP_2)
	v_add_co_u32 v4, vcc_lo, v4, v9
	s_wait_alu 0xfffd
	v_add_co_ci_u32_e32 v4, vcc_lo, v7, v10, vcc_lo
	s_wait_alu 0xfffd
	v_add_co_ci_u32_e32 v7, vcc_lo, 0, v12, vcc_lo
	s_delay_alu instid0(VALU_DEP_2) | instskip(SKIP_1) | instid1(VALU_DEP_2)
	v_add_co_u32 v4, vcc_lo, v4, v11
	s_wait_alu 0xfffd
	v_add_co_ci_u32_e32 v9, vcc_lo, 0, v7, vcc_lo
	s_delay_alu instid0(VALU_DEP_2) | instskip(SKIP_1) | instid1(VALU_DEP_3)
	v_mul_lo_u32 v10, s25, v4
	v_mad_co_u64_u32 v[7:8], null, s24, v4, 0
	v_mul_lo_u32 v11, s24, v9
	s_delay_alu instid0(VALU_DEP_2) | instskip(NEXT) | instid1(VALU_DEP_2)
	v_sub_co_u32 v7, vcc_lo, v5, v7
	v_add3_u32 v8, v8, v11, v10
	s_delay_alu instid0(VALU_DEP_1) | instskip(SKIP_1) | instid1(VALU_DEP_1)
	v_sub_nc_u32_e32 v10, v6, v8
	s_wait_alu 0xfffd
	v_subrev_co_ci_u32_e64 v10, s2, s25, v10, vcc_lo
	v_add_co_u32 v11, s2, v4, 2
	s_wait_alu 0xf1ff
	v_add_co_ci_u32_e64 v12, s2, 0, v9, s2
	v_sub_co_u32 v13, s2, v7, s24
	v_sub_co_ci_u32_e32 v8, vcc_lo, v6, v8, vcc_lo
	s_wait_alu 0xf1ff
	v_subrev_co_ci_u32_e64 v10, s2, 0, v10, s2
	s_delay_alu instid0(VALU_DEP_3) | instskip(NEXT) | instid1(VALU_DEP_3)
	v_cmp_le_u32_e32 vcc_lo, s24, v13
	v_cmp_eq_u32_e64 s2, s25, v8
	s_wait_alu 0xfffd
	v_cndmask_b32_e64 v13, 0, -1, vcc_lo
	v_cmp_le_u32_e32 vcc_lo, s25, v10
	s_wait_alu 0xfffd
	v_cndmask_b32_e64 v14, 0, -1, vcc_lo
	v_cmp_le_u32_e32 vcc_lo, s24, v7
	;; [unrolled: 3-line block ×3, first 2 shown]
	s_wait_alu 0xfffd
	v_cndmask_b32_e64 v15, 0, -1, vcc_lo
	v_cmp_eq_u32_e32 vcc_lo, s25, v10
	s_wait_alu 0xf1ff
	s_delay_alu instid0(VALU_DEP_2)
	v_cndmask_b32_e64 v7, v15, v7, s2
	s_wait_alu 0xfffd
	v_cndmask_b32_e32 v10, v14, v13, vcc_lo
	v_add_co_u32 v13, vcc_lo, v4, 1
	s_wait_alu 0xfffd
	v_add_co_ci_u32_e32 v14, vcc_lo, 0, v9, vcc_lo
	s_delay_alu instid0(VALU_DEP_3) | instskip(SKIP_1) | instid1(VALU_DEP_2)
	v_cmp_ne_u32_e32 vcc_lo, 0, v10
	s_wait_alu 0xfffd
	v_cndmask_b32_e32 v8, v14, v12, vcc_lo
	v_cndmask_b32_e32 v10, v13, v11, vcc_lo
	v_cmp_ne_u32_e32 vcc_lo, 0, v7
	s_wait_alu 0xfffd
	s_delay_alu instid0(VALU_DEP_2)
	v_dual_cndmask_b32 v57, v9, v8 :: v_dual_cndmask_b32 v56, v4, v10
.LBB0_4:                                ;   in Loop: Header=BB0_2 Depth=1
	s_wait_alu 0xfffe
	s_and_not1_saveexec_b32 s2, s26
	s_cbranch_execz .LBB0_6
; %bb.5:                                ;   in Loop: Header=BB0_2 Depth=1
	v_cvt_f32_u32_e32 v4, s24
	s_sub_co_i32 s26, 0, s24
	v_mov_b32_e32 v57, v3
	s_delay_alu instid0(VALU_DEP_2) | instskip(NEXT) | instid1(TRANS32_DEP_1)
	v_rcp_iflag_f32_e32 v4, v4
	v_mul_f32_e32 v4, 0x4f7ffffe, v4
	s_delay_alu instid0(VALU_DEP_1) | instskip(SKIP_1) | instid1(VALU_DEP_1)
	v_cvt_u32_f32_e32 v4, v4
	s_wait_alu 0xfffe
	v_mul_lo_u32 v7, s26, v4
	s_delay_alu instid0(VALU_DEP_1) | instskip(NEXT) | instid1(VALU_DEP_1)
	v_mul_hi_u32 v7, v4, v7
	v_add_nc_u32_e32 v4, v4, v7
	s_delay_alu instid0(VALU_DEP_1) | instskip(NEXT) | instid1(VALU_DEP_1)
	v_mul_hi_u32 v4, v5, v4
	v_mul_lo_u32 v7, v4, s24
	v_add_nc_u32_e32 v8, 1, v4
	s_delay_alu instid0(VALU_DEP_2) | instskip(NEXT) | instid1(VALU_DEP_1)
	v_sub_nc_u32_e32 v7, v5, v7
	v_subrev_nc_u32_e32 v9, s24, v7
	v_cmp_le_u32_e32 vcc_lo, s24, v7
	s_wait_alu 0xfffd
	s_delay_alu instid0(VALU_DEP_2) | instskip(NEXT) | instid1(VALU_DEP_1)
	v_dual_cndmask_b32 v7, v7, v9 :: v_dual_cndmask_b32 v4, v4, v8
	v_cmp_le_u32_e32 vcc_lo, s24, v7
	s_delay_alu instid0(VALU_DEP_2) | instskip(SKIP_1) | instid1(VALU_DEP_1)
	v_add_nc_u32_e32 v8, 1, v4
	s_wait_alu 0xfffd
	v_cndmask_b32_e32 v56, v4, v8, vcc_lo
.LBB0_6:                                ;   in Loop: Header=BB0_2 Depth=1
	s_wait_alu 0xfffe
	s_or_b32 exec_lo, exec_lo, s2
	v_mul_lo_u32 v4, v57, s24
	s_delay_alu instid0(VALU_DEP_2)
	v_mul_lo_u32 v9, v56, s25
	s_load_b64 s[26:27], s[18:19], 0x0
	v_mad_co_u64_u32 v[7:8], null, v56, s24, 0
	s_load_b64 s[24:25], s[16:17], 0x0
	s_add_nc_u64 s[20:21], s[20:21], 1
	s_add_nc_u64 s[16:17], s[16:17], 8
	s_wait_alu 0xfffe
	v_cmp_ge_u64_e64 s2, s[20:21], s[10:11]
	s_add_nc_u64 s[18:19], s[18:19], 8
	s_add_nc_u64 s[22:23], s[22:23], 8
	v_add3_u32 v4, v8, v9, v4
	v_sub_co_u32 v5, vcc_lo, v5, v7
	s_wait_alu 0xfffd
	s_delay_alu instid0(VALU_DEP_2) | instskip(SKIP_2) | instid1(VALU_DEP_1)
	v_sub_co_ci_u32_e32 v4, vcc_lo, v6, v4, vcc_lo
	s_and_b32 vcc_lo, exec_lo, s2
	s_wait_kmcnt 0x0
	v_mul_lo_u32 v6, s26, v4
	v_mul_lo_u32 v7, s27, v5
	v_mad_co_u64_u32 v[1:2], null, s26, v5, v[1:2]
	v_mul_lo_u32 v4, s24, v4
	v_mul_lo_u32 v8, s25, v5
	v_mad_co_u64_u32 v[52:53], null, s24, v5, v[52:53]
	s_delay_alu instid0(VALU_DEP_4) | instskip(NEXT) | instid1(VALU_DEP_2)
	v_add3_u32 v2, v7, v2, v6
	v_add3_u32 v53, v8, v53, v4
	s_wait_alu 0xfffe
	s_cbranch_vccnz .LBB0_9
; %bb.7:                                ;   in Loop: Header=BB0_2 Depth=1
	v_dual_mov_b32 v5, v56 :: v_dual_mov_b32 v6, v57
	s_branch .LBB0_2
.LBB0_8:
	v_dual_mov_b32 v53, v2 :: v_dual_mov_b32 v52, v1
	v_dual_mov_b32 v57, v6 :: v_dual_mov_b32 v56, v5
.LBB0_9:
	s_load_b64 s[0:1], s[0:1], 0x28
	v_mul_hi_u32 v3, 0x13b13b2, v0
                                        ; implicit-def: $vgpr54
	s_wait_kmcnt 0x0
	s_delay_alu instid0(VALU_DEP_2) | instskip(SKIP_1) | instid1(VALU_DEP_1)
	v_cmp_gt_u64_e32 vcc_lo, s[0:1], v[56:57]
	v_cmp_le_u64_e64 s0, s[0:1], v[56:57]
	s_and_saveexec_b32 s1, s0
	s_wait_alu 0xfffe
	s_xor_b32 s0, exec_lo, s1
; %bb.10:
	s_delay_alu instid0(VALU_DEP_3) | instskip(NEXT) | instid1(VALU_DEP_1)
	v_mul_u32_u24_e32 v1, 0xd0, v3
                                        ; implicit-def: $vgpr3
	v_sub_nc_u32_e32 v54, v0, v1
                                        ; implicit-def: $vgpr0
                                        ; implicit-def: $vgpr1_vgpr2
; %bb.11:
	s_wait_alu 0xfffe
	s_or_saveexec_b32 s1, s0
	s_lshl_b64 s[2:3], s[10:11], 3
	s_wait_alu 0xfffe
	s_xor_b32 exec_lo, exec_lo, s1
	s_cbranch_execz .LBB0_13
; %bb.12:
	s_add_nc_u64 s[10:11], s[12:13], s[2:3]
	v_lshlrev_b64_e32 v[1:2], 4, v[1:2]
	s_load_b64 s[10:11], s[10:11], 0x0
	s_wait_kmcnt 0x0
	v_mul_lo_u32 v6, s11, v56
	v_mul_lo_u32 v7, s10, v57
	v_mad_co_u64_u32 v[4:5], null, s10, v56, 0
	s_delay_alu instid0(VALU_DEP_1) | instskip(SKIP_1) | instid1(VALU_DEP_2)
	v_add3_u32 v5, v5, v7, v6
	v_mul_u32_u24_e32 v6, 0xd0, v3
	v_lshlrev_b64_e32 v[3:4], 4, v[4:5]
	s_delay_alu instid0(VALU_DEP_2) | instskip(NEXT) | instid1(VALU_DEP_1)
	v_sub_nc_u32_e32 v54, v0, v6
	v_lshlrev_b32_e32 v32, 4, v54
	s_delay_alu instid0(VALU_DEP_3) | instskip(SKIP_1) | instid1(VALU_DEP_4)
	v_add_co_u32 v0, s0, s4, v3
	s_wait_alu 0xf1ff
	v_add_co_ci_u32_e64 v3, s0, s5, v4, s0
	s_delay_alu instid0(VALU_DEP_2) | instskip(SKIP_1) | instid1(VALU_DEP_2)
	v_add_co_u32 v0, s0, v0, v1
	s_wait_alu 0xf1ff
	v_add_co_ci_u32_e64 v1, s0, v3, v2, s0
	s_delay_alu instid0(VALU_DEP_2) | instskip(SKIP_1) | instid1(VALU_DEP_2)
	v_add_co_u32 v28, s0, v0, v32
	s_wait_alu 0xf1ff
	v_add_co_ci_u32_e64 v29, s0, 0, v1, s0
	s_clause 0x7
	global_load_b128 v[0:3], v[28:29], off
	global_load_b128 v[4:7], v[28:29], off offset:3328
	global_load_b128 v[8:11], v[28:29], off offset:6656
	;; [unrolled: 1-line block ×7, first 2 shown]
	v_add_nc_u32_e32 v32, 0, v32
	s_wait_loadcnt 0x7
	ds_store_b128 v32, v[0:3]
	s_wait_loadcnt 0x6
	ds_store_b128 v32, v[4:7] offset:3328
	s_wait_loadcnt 0x5
	ds_store_b128 v32, v[8:11] offset:6656
	;; [unrolled: 2-line block ×7, first 2 shown]
.LBB0_13:
	s_or_b32 exec_lo, exec_lo, s1
	v_lshl_add_u32 v82, v54, 4, 0
	global_wb scope:SCOPE_SE
	s_wait_dscnt 0x0
	s_barrier_signal -1
	s_barrier_wait -1
	global_inv scope:SCOPE_SE
	ds_load_b128 v[16:19], v82
	ds_load_b128 v[48:51], v82 offset:2048
	ds_load_b128 v[36:39], v82 offset:4096
	;; [unrolled: 1-line block ×12, first 2 shown]
	s_add_nc_u64 s[2:3], s[14:15], s[2:3]
	s_mov_b32 s33, exec_lo
	global_wb scope:SCOPE_SE
	s_wait_dscnt 0x0
	s_barrier_signal -1
	s_barrier_wait -1
	global_inv scope:SCOPE_SE
	v_cmpx_gt_u32_e32 0x80, v54
	s_cbranch_execz .LBB0_15
; %bb.14:
	v_add_f64_e32 v[58:59], v[18:19], v[50:51]
	v_add_f64_e32 v[60:61], v[16:17], v[48:49]
	v_add_f64_e64 v[83:84], v[36:37], -v[4:5]
	v_add_f64_e64 v[80:81], v[38:39], -v[6:7]
	;; [unrolled: 1-line block ×10, first 2 shown]
	s_mov_b32 s35, 0x3fddbe06
	s_mov_b32 s34, 0x4267c47c
	;; [unrolled: 1-line block ×14, first 2 shown]
	s_wait_alu 0xfffe
	s_mov_b32 s28, s10
	s_mov_b32 s30, s24
	v_add_f64_e32 v[76:77], v[50:51], v[2:3]
	v_add_f64_e32 v[78:79], v[48:49], v[0:1]
	;; [unrolled: 1-line block ×4, first 2 shown]
	s_mov_b32 s26, 0xebaa3ed8
	s_mov_b32 s20, 0xb2365da1
	;; [unrolled: 1-line block ×6, first 2 shown]
	v_add_f64_e32 v[58:59], v[58:59], v[38:39]
	v_add_f64_e32 v[60:61], v[60:61], v[36:37]
	v_mul_f64_e32 v[95:96], s[34:35], v[83:84]
	v_mul_f64_e32 v[97:98], s[34:35], v[80:81]
	;; [unrolled: 1-line block ×11, first 2 shown]
	s_wait_alu 0xfffe
	v_mul_f64_e32 v[111:112], s[30:31], v[85:86]
	v_mul_f64_e32 v[119:120], s[4:5], v[89:90]
	v_mul_f64_e32 v[123:124], s[22:23], v[89:90]
	v_mul_f64_e32 v[127:128], s[30:31], v[89:90]
	v_mul_f64_e32 v[129:130], s[28:29], v[89:90]
	s_mov_b32 s27, 0x3fbedb7d
	s_mov_b32 s21, 0xbfd6b1d8
	;; [unrolled: 1-line block ×10, first 2 shown]
	v_add_f64_e32 v[38:39], v[38:39], v[6:7]
	v_add_f64_e32 v[36:37], v[36:37], v[4:5]
	v_mul_f64_e32 v[131:132], s[24:25], v[83:84]
	v_mul_f64_e32 v[133:134], s[36:37], v[83:84]
	;; [unrolled: 1-line block ×8, first 2 shown]
	v_add_f64_e32 v[66:67], v[58:59], v[42:43]
	v_add_f64_e32 v[68:69], v[60:61], v[40:41]
	v_add_f64_e64 v[60:61], v[28:29], -v[24:25]
	v_add_f64_e64 v[58:59], v[30:31], -v[26:27]
	v_add_f64_e32 v[42:43], v[42:43], v[10:11]
	v_mul_f64_e32 v[145:146], s[22:23], v[80:81]
	v_mul_f64_e32 v[80:81], s[28:29], v[80:81]
	;; [unrolled: 1-line block ×7, first 2 shown]
	v_fma_f64 v[155:156], v[76:77], s[12:13], v[99:100]
	v_fma_f64 v[99:100], v[76:77], s[12:13], -v[99:100]
	v_fma_f64 v[157:158], v[76:77], s[14:15], v[103:104]
	v_fma_f64 v[103:104], v[76:77], s[14:15], -v[103:104]
	s_wait_alu 0xfffe
	v_fma_f64 v[159:160], v[76:77], s[20:21], v[107:108]
	v_fma_f64 v[107:108], v[76:77], s[20:21], -v[107:108]
	v_fma_f64 v[161:162], v[76:77], s[26:27], v[111:112]
	v_fma_f64 v[111:112], v[76:77], s[26:27], -v[111:112]
	v_fma_f64 v[163:164], v[78:79], s[14:15], -v[119:120]
	v_fma_f64 v[119:120], v[78:79], s[14:15], v[119:120]
	v_fma_f64 v[165:166], v[78:79], s[20:21], -v[123:124]
	v_fma_f64 v[123:124], v[78:79], s[20:21], v[123:124]
	;; [unrolled: 2-line block ×4, first 2 shown]
	v_add_f64_e32 v[40:41], v[40:41], v[8:9]
	v_fma_f64 v[171:172], v[38:39], s[16:17], v[95:96]
	v_fma_f64 v[95:96], v[38:39], s[16:17], -v[95:96]
	v_fma_f64 v[173:174], v[38:39], s[26:27], v[131:132]
	v_fma_f64 v[131:132], v[38:39], s[26:27], -v[131:132]
	;; [unrolled: 2-line block ×4, first 2 shown]
	v_fma_f64 v[179:180], v[38:39], s[20:21], v[137:138]
	v_add_f64_e32 v[91:92], v[66:67], v[46:47]
	v_add_f64_e32 v[93:94], v[68:69], v[44:45]
	;; [unrolled: 1-line block ×4, first 2 shown]
	v_mul_f64_e32 v[121:122], s[34:35], v[60:61]
	v_mul_f64_e32 v[125:126], s[34:35], v[58:59]
	s_mov_b32 s35, 0xbfddbe06
	v_fma_f64 v[137:138], v[38:39], s[20:21], -v[137:138]
	v_fma_f64 v[181:182], v[38:39], s[18:19], v[83:84]
	v_fma_f64 v[38:39], v[38:39], s[18:19], -v[83:84]
	v_fma_f64 v[83:84], v[36:37], s[16:17], -v[97:98]
	v_fma_f64 v[97:98], v[36:37], s[16:17], v[97:98]
	v_fma_f64 v[183:184], v[36:37], s[26:27], -v[139:140]
	v_fma_f64 v[139:140], v[36:37], s[26:27], v[139:140]
	v_fma_f64 v[189:190], v[42:43], s[18:19], v[149:150]
	v_fma_f64 v[149:150], v[42:43], s[18:19], -v[149:150]
	v_add_f64_e32 v[155:156], v[18:19], v[155:156]
	v_add_f64_e32 v[99:100], v[18:19], v[99:100]
	;; [unrolled: 1-line block ×16, first 2 shown]
	v_mul_f64_e32 v[191:192], s[28:29], v[74:75]
	v_mul_f64_e32 v[193:194], s[38:39], v[74:75]
	;; [unrolled: 1-line block ×3, first 2 shown]
	v_add_f64_e32 v[46:47], v[46:47], v[14:15]
	v_add_f64_e32 v[44:45], v[44:45], v[12:13]
	v_fma_f64 v[201:202], v[40:41], s[16:17], -v[113:114]
	v_add_f64_e32 v[34:35], v[91:92], v[34:35]
	v_add_f64_e32 v[32:33], v[93:94], v[32:33]
	v_mul_f64_e32 v[91:92], s[0:1], v[89:90]
	v_mul_f64_e32 v[93:94], s[28:29], v[85:86]
	s_wait_alu 0xfffe
	v_mul_f64_e32 v[85:86], s[34:35], v[85:86]
	v_mul_f64_e32 v[89:90], s[34:35], v[89:90]
	s_mov_b32 s35, 0x3fcea1e5
	s_mov_b32 s34, s0
	v_fma_f64 v[113:114], v[40:41], s[16:17], v[113:114]
	v_mad_u32_u24 v55, 0xc0, v54, v82
	v_add_f64_e32 v[107:108], v[133:134], v[107:108]
	s_wait_alu 0xfffe
	v_mul_f64_e32 v[133:134], s[34:35], v[72:73]
	v_add_f64_e32 v[111:112], v[135:136], v[111:112]
	v_mul_f64_e32 v[135:136], s[22:23], v[64:65]
	v_fma_f64 v[199:200], v[40:41], s[18:19], -v[191:192]
	v_fma_f64 v[191:192], v[40:41], s[18:19], v[191:192]
	v_fma_f64 v[203:204], v[40:41], s[20:21], -v[193:194]
	v_fma_f64 v[193:194], v[40:41], s[20:21], v[193:194]
	;; [unrolled: 2-line block ×3, first 2 shown]
	v_add_f64_e32 v[30:31], v[34:35], v[30:31]
	v_add_f64_e32 v[28:29], v[32:33], v[28:29]
	v_fma_f64 v[32:33], v[78:79], s[12:13], -v[91:92]
	v_fma_f64 v[34:35], v[76:77], s[18:19], v[93:94]
	v_fma_f64 v[91:92], v[78:79], s[12:13], v[91:92]
	v_fma_f64 v[93:94], v[76:77], s[18:19], -v[93:94]
	v_fma_f64 v[185:186], v[76:77], s[16:17], v[85:86]
	v_fma_f64 v[187:188], v[78:79], s[16:17], -v[89:90]
	v_fma_f64 v[76:77], v[76:77], s[16:17], -v[85:86]
	v_fma_f64 v[78:79], v[78:79], s[16:17], v[89:90]
	v_fma_f64 v[85:86], v[36:37], s[14:15], -v[141:142]
	v_fma_f64 v[89:90], v[36:37], s[14:15], v[141:142]
	;; [unrolled: 2-line block ×3, first 2 shown]
	v_add_f64_e32 v[26:27], v[30:31], v[26:27]
	v_add_f64_e32 v[24:25], v[28:29], v[24:25]
	v_fma_f64 v[28:29], v[36:37], s[20:21], -v[145:146]
	v_fma_f64 v[30:31], v[36:37], s[20:21], v[145:146]
	v_fma_f64 v[145:146], v[36:37], s[18:19], -v[80:81]
	v_fma_f64 v[36:37], v[36:37], s[18:19], v[80:81]
	v_fma_f64 v[80:81], v[42:43], s[14:15], v[147:148]
	v_fma_f64 v[147:148], v[42:43], s[14:15], -v[147:148]
	v_add_f64_e32 v[32:33], v[16:17], v[32:33]
	v_add_f64_e32 v[91:92], v[16:17], v[91:92]
	;; [unrolled: 1-line block ×8, first 2 shown]
	v_fma_f64 v[76:77], v[42:43], s[16:17], v[109:110]
	v_fma_f64 v[78:79], v[42:43], s[16:17], -v[109:110]
	v_fma_f64 v[109:110], v[42:43], s[20:21], v[151:152]
	v_fma_f64 v[151:152], v[42:43], s[20:21], -v[151:152]
	v_add_f64_e32 v[89:90], v[89:90], v[123:124]
	v_mul_f64_e32 v[123:124], s[34:35], v[70:71]
	v_add_f64_e32 v[85:86], v[85:86], v[165:166]
	v_add_f64_e32 v[141:142], v[141:142], v[167:168]
	;; [unrolled: 1-line block ×3, first 2 shown]
	v_mul_f64_e32 v[143:144], s[36:37], v[72:73]
	v_mul_f64_e32 v[167:168], s[28:29], v[64:65]
	v_add_f64_e32 v[22:23], v[26:27], v[22:23]
	v_add_f64_e32 v[20:21], v[24:25], v[20:21]
	v_fma_f64 v[24:25], v[42:43], s[12:13], v[153:154]
	v_fma_f64 v[26:27], v[42:43], s[12:13], -v[153:154]
	v_fma_f64 v[153:154], v[42:43], s[26:27], v[87:88]
	v_fma_f64 v[42:43], v[42:43], s[26:27], -v[87:88]
	v_mul_f64_e32 v[87:88], s[4:5], v[74:75]
	v_mul_f64_e32 v[74:75], s[30:31], v[74:75]
	v_add_f64_e32 v[32:33], v[83:84], v[32:33]
	v_add_f64_e32 v[83:84], v[95:96], v[99:100]
	;; [unrolled: 1-line block ×6, first 2 shown]
	v_mul_f64_e32 v[131:132], s[10:11], v[72:73]
	v_mul_f64_e32 v[139:140], s[10:11], v[70:71]
	v_add_f64_e32 v[97:98], v[183:184], v[163:164]
	v_add_f64_e32 v[119:120], v[175:176], v[159:160]
	v_mul_f64_e32 v[157:158], s[30:31], v[72:73]
	v_mul_f64_e32 v[159:160], s[30:31], v[70:71]
	v_add_f64_e32 v[34:35], v[179:180], v[34:35]
	v_add_f64_e32 v[28:29], v[28:29], v[169:170]
	;; [unrolled: 4-line block ×3, first 2 shown]
	v_add_f64_e32 v[165:166], v[181:182], v[185:186]
	v_mul_f64_e32 v[70:71], s[22:23], v[70:71]
	v_add_f64_e32 v[145:146], v[145:146], v[187:188]
	v_add_f64_e32 v[18:19], v[38:39], v[18:19]
	v_fma_f64 v[173:174], v[44:45], s[12:13], -v[123:124]
	v_add_f64_e32 v[16:17], v[36:37], v[16:17]
	v_mul_f64_e32 v[137:138], s[34:35], v[64:65]
	v_mul_f64_e32 v[129:130], s[34:35], v[62:63]
	;; [unrolled: 1-line block ×4, first 2 shown]
	v_fma_f64 v[123:124], v[44:45], s[12:13], v[123:124]
	v_add_f64_e32 v[85:86], v[201:202], v[85:86]
	v_add_f64_e32 v[78:79], v[78:79], v[107:108]
	;; [unrolled: 1-line block ×3, first 2 shown]
	v_fma_f64 v[113:114], v[68:69], s[16:17], v[101:102]
	v_add_f64_e32 v[141:142], v[203:204], v[141:142]
	v_add_f64_e32 v[111:112], v[151:152], v[111:112]
	;; [unrolled: 1-line block ×3, first 2 shown]
	v_fma_f64 v[197:198], v[40:41], s[14:15], -v[87:88]
	v_fma_f64 v[87:88], v[40:41], s[14:15], v[87:88]
	v_fma_f64 v[207:208], v[40:41], s[26:27], -v[74:75]
	v_fma_f64 v[40:41], v[40:41], s[26:27], v[74:75]
	v_add_f64_e32 v[74:75], v[171:172], v[155:156]
	v_add_f64_e32 v[155:156], v[177:178], v[161:162]
	v_mul_f64_e32 v[161:162], s[22:23], v[62:63]
	v_add_f64_e32 v[83:84], v[147:148], v[83:84]
	v_fma_f64 v[171:172], v[46:47], s[18:19], v[131:132]
	v_fma_f64 v[147:148], v[44:45], s[18:19], -v[139:140]
	v_fma_f64 v[131:132], v[46:47], s[18:19], -v[131:132]
	v_fma_f64 v[139:140], v[44:45], s[18:19], v[139:140]
	v_add_f64_e32 v[95:96], v[189:190], v[95:96]
	v_add_f64_e32 v[97:98], v[199:200], v[97:98]
	v_fma_f64 v[36:37], v[46:47], s[26:27], v[157:158]
	v_fma_f64 v[175:176], v[44:45], s[26:27], -v[159:160]
	v_fma_f64 v[157:158], v[46:47], s[26:27], -v[157:158]
	v_fma_f64 v[159:160], v[44:45], s[26:27], v[159:160]
	v_add_f64_e32 v[99:100], v[149:150], v[99:100]
	v_fma_f64 v[149:150], v[46:47], s[16:17], v[115:116]
	v_add_f64_e32 v[103:104], v[191:192], v[103:104]
	v_fma_f64 v[177:178], v[44:45], s[16:17], -v[117:118]
	v_fma_f64 v[115:116], v[46:47], s[16:17], -v[115:116]
	v_fma_f64 v[117:118], v[44:45], s[16:17], v[117:118]
	v_add_f64_e32 v[76:77], v[76:77], v[119:120]
	v_fma_f64 v[119:120], v[46:47], s[14:15], v[143:144]
	v_fma_f64 v[143:144], v[46:47], s[14:15], -v[143:144]
	v_fma_f64 v[181:182], v[46:47], s[20:21], v[72:73]
	v_add_f64_e32 v[24:25], v[24:25], v[34:35]
	v_add_f64_e32 v[14:15], v[22:23], v[14:15]
	;; [unrolled: 1-line block ×7, first 2 shown]
	v_fma_f64 v[179:180], v[68:69], s[20:21], v[135:136]
	v_fma_f64 v[135:136], v[68:69], s[20:21], -v[135:136]
	v_add_f64_e32 v[18:19], v[42:43], v[18:19]
	v_add_f64_e32 v[32:33], v[197:198], v[32:33]
	;; [unrolled: 1-line block ×3, first 2 shown]
	v_fma_f64 v[91:92], v[46:47], s[12:13], v[133:134]
	v_fma_f64 v[133:134], v[46:47], s[12:13], -v[133:134]
	v_add_f64_e32 v[74:75], v[80:81], v[74:75]
	v_mul_f64_e32 v[80:81], s[24:25], v[62:63]
	v_fma_f64 v[107:108], v[66:67], s[20:21], -v[161:162]
	v_add_f64_e32 v[109:110], v[109:110], v[155:156]
	v_fma_f64 v[155:156], v[44:45], s[14:15], -v[163:164]
	v_fma_f64 v[163:164], v[44:45], s[14:15], v[163:164]
	v_fma_f64 v[46:47], v[46:47], s[20:21], -v[72:73]
	v_fma_f64 v[72:73], v[44:45], s[20:21], -v[70:71]
	v_fma_f64 v[44:45], v[44:45], s[20:21], v[70:71]
	v_fma_f64 v[70:71], v[66:67], s[16:17], -v[105:106]
	v_add_f64_e32 v[42:43], v[173:174], v[97:98]
	v_mul_f64_e32 v[30:31], s[4:5], v[64:65]
	v_mul_f64_e32 v[62:63], s[4:5], v[62:63]
	v_add_f64_e32 v[16:17], v[40:41], v[16:17]
	v_mul_f64_e32 v[64:65], s[24:25], v[60:61]
	v_fma_f64 v[101:102], v[68:69], s[16:17], -v[101:102]
	v_add_f64_e32 v[97:98], v[123:124], v[103:104]
	v_add_f64_e32 v[78:79], v[157:158], v[78:79]
	;; [unrolled: 1-line block ×3, first 2 shown]
	v_fma_f64 v[111:112], v[66:67], s[12:13], v[129:130]
	v_add_f64_e32 v[36:37], v[36:37], v[76:77]
	v_add_f64_e32 v[76:77], v[175:176], v[85:86]
	;; [unrolled: 1-line block ×3, first 2 shown]
	v_fma_f64 v[115:116], v[66:67], s[18:19], -v[169:170]
	v_add_f64_e32 v[24:25], v[119:120], v[24:25]
	v_add_f64_e32 v[10:11], v[14:15], v[10:11]
	v_add_f64_e32 v[8:9], v[12:13], v[8:9]
	v_fma_f64 v[119:120], v[66:67], s[18:19], v[169:170]
	v_add_f64_e32 v[14:15], v[143:144], v[22:23]
	v_fma_f64 v[123:124], v[68:69], s[26:27], v[38:39]
	v_add_f64_e32 v[22:23], v[181:182], v[28:29]
	v_fma_f64 v[28:29], v[66:67], s[12:13], -v[129:130]
	v_fma_f64 v[38:39], v[68:69], s[26:27], -v[38:39]
	v_mul_f64_e32 v[93:94], s[22:23], v[60:61]
	v_add_f64_e32 v[32:33], v[147:148], v[32:33]
	v_fma_f64 v[105:106], v[66:67], s[16:17], v[105:106]
	v_fma_f64 v[161:162], v[66:67], s[20:21], v[161:162]
	v_add_f64_e32 v[40:41], v[133:134], v[99:100]
	v_add_f64_e32 v[34:35], v[171:172], v[74:75]
	;; [unrolled: 1-line block ×6, first 2 shown]
	v_mul_f64_e32 v[91:92], s[24:25], v[58:59]
	v_add_f64_e32 v[89:90], v[149:150], v[109:110]
	v_add_f64_e32 v[99:100], v[177:178], v[141:142]
	v_add_f64_e32 v[109:110], v[117:118], v[127:128]
	v_add_f64_e32 v[12:13], v[155:156], v[20:21]
	v_add_f64_e32 v[20:21], v[163:164], v[26:27]
	v_fma_f64 v[26:27], v[68:69], s[12:13], v[137:138]
	v_fma_f64 v[117:118], v[68:69], s[18:19], -v[167:168]
	v_fma_f64 v[127:128], v[66:67], s[26:27], -v[80:81]
	v_fma_f64 v[80:81], v[66:67], s[26:27], v[80:81]
	v_mul_f64_e32 v[133:134], s[10:11], v[60:61]
	v_add_f64_e32 v[42:43], v[70:71], v[42:43]
	v_mul_f64_e32 v[70:71], s[10:11], v[58:59]
	v_mul_f64_e32 v[95:96], s[22:23], v[58:59]
	v_fma_f64 v[129:130], v[68:69], s[14:15], v[30:31]
	v_fma_f64 v[30:31], v[68:69], s[14:15], -v[30:31]
	v_add_f64_e32 v[18:19], v[46:47], v[18:19]
	v_fma_f64 v[46:47], v[66:67], s[14:15], v[62:63]
	v_add_f64_e32 v[16:17], v[44:45], v[16:17]
	v_fma_f64 v[62:63], v[66:67], s[14:15], -v[62:63]
	v_add_f64_e32 v[28:29], v[28:29], v[76:77]
	v_add_f64_e32 v[76:77], v[111:112], v[85:86]
	v_fma_f64 v[44:45], v[50:51], s[20:21], v[93:94]
	v_add_f64_e32 v[32:33], v[107:108], v[32:33]
	v_fma_f64 v[107:108], v[68:69], s[12:13], -v[137:138]
	v_add_f64_e32 v[97:98], v[105:106], v[97:98]
	v_add_f64_e32 v[40:41], v[101:102], v[40:41]
	;; [unrolled: 1-line block ×4, first 2 shown]
	v_mul_f64_e32 v[135:136], s[4:5], v[60:61]
	v_add_f64_e32 v[87:88], v[113:114], v[87:88]
	v_fma_f64 v[113:114], v[68:69], s[18:19], v[167:168]
	v_add_f64_e32 v[72:73], v[72:73], v[131:132]
	v_mul_f64_e32 v[131:132], s[4:5], v[58:59]
	v_mul_f64_e32 v[60:61], s[0:1], v[60:61]
	;; [unrolled: 1-line block ×3, first 2 shown]
	v_fma_f64 v[101:102], v[50:51], s[26:27], v[64:65]
	v_fma_f64 v[68:69], v[48:49], s[26:27], -v[91:92]
	v_add_f64_e32 v[26:27], v[26:27], v[36:37]
	v_add_f64_e32 v[85:86], v[115:116], v[99:100]
	;; [unrolled: 1-line block ×3, first 2 shown]
	v_fma_f64 v[119:120], v[48:49], s[16:17], v[125:126]
	v_fma_f64 v[109:110], v[50:51], s[18:19], -v[133:134]
	v_fma_f64 v[93:94], v[50:51], s[20:21], -v[93:94]
	;; [unrolled: 1-line block ×3, first 2 shown]
	v_fma_f64 v[70:71], v[48:49], s[18:19], v[70:71]
	v_fma_f64 v[66:67], v[48:49], s[20:21], -v[95:96]
	v_fma_f64 v[95:96], v[48:49], s[20:21], v[95:96]
	v_add_f64_e32 v[83:84], v[161:162], v[83:84]
	v_fma_f64 v[64:65], v[50:51], s[26:27], -v[64:65]
	v_fma_f64 v[91:92], v[48:49], s[26:27], v[91:92]
	v_fma_f64 v[125:126], v[48:49], s[16:17], -v[125:126]
	v_add_f64_e32 v[105:106], v[10:11], v[6:7]
	v_add_f64_e32 v[137:138], v[8:9], v[4:5]
	;; [unrolled: 1-line block ×4, first 2 shown]
	v_fma_f64 v[115:116], v[50:51], s[14:15], -v[135:136]
	v_add_f64_e32 v[78:79], v[113:114], v[89:90]
	v_add_f64_e32 v[89:90], v[117:118], v[103:104]
	;; [unrolled: 1-line block ×5, first 2 shown]
	v_fma_f64 v[117:118], v[50:51], s[16:17], -v[121:122]
	v_fma_f64 v[20:21], v[50:51], s[18:19], v[133:134]
	v_fma_f64 v[123:124], v[48:49], s[14:15], v[131:132]
	;; [unrolled: 1-line block ×3, first 2 shown]
	v_fma_f64 v[127:128], v[48:49], s[14:15], -v[131:132]
	v_fma_f64 v[121:122], v[50:51], s[16:17], v[121:122]
	v_add_f64_e32 v[80:81], v[129:130], v[22:23]
	v_fma_f64 v[129:130], v[50:51], s[12:13], v[60:61]
	v_fma_f64 v[50:51], v[50:51], s[12:13], -v[60:61]
	v_add_f64_e32 v[60:61], v[30:31], v[18:19]
	v_fma_f64 v[131:132], v[48:49], s[12:13], v[58:59]
	v_add_f64_e32 v[133:134], v[46:47], v[16:17]
	v_fma_f64 v[58:59], v[48:49], s[12:13], -v[58:59]
	v_add_f64_e32 v[62:63], v[62:63], v[72:73]
	v_add_f64_e32 v[6:7], v[101:102], v[34:35]
	;; [unrolled: 1-line block ×27, first 2 shown]
	ds_store_b128 v55, v[32:35] offset:32
	ds_store_b128 v55, v[28:31] offset:48
	;; [unrolled: 1-line block ×11, first 2 shown]
	ds_store_b128 v55, v[0:3]
	ds_store_b128 v55, v[44:47] offset:192
.LBB0_15:
	s_or_b32 exec_lo, exec_lo, s33
	v_add_nc_u32_e32 v4, 0xd0, v54
	v_add_nc_u32_e32 v0, 0x1a0, v54
	v_and_b32_e32 v2, 0xff, v54
	v_add_nc_u32_e32 v1, 0x270, v54
	s_load_b64 s[2:3], s[2:3], 0x0
	v_and_b32_e32 v3, 0xffff, v4
	v_and_b32_e32 v7, 0xffff, v0
	v_mul_lo_u16 v6, 0x4f, v2
	v_and_b32_e32 v2, 0xffff, v1
	global_wb scope:SCOPE_SE
	s_wait_dscnt 0x0
	v_mul_u32_u24_e32 v5, 0x4ec5, v3
	v_mul_u32_u24_e32 v3, 0x4ec5, v7
	v_lshrrev_b16 v47, 10, v6
	v_mul_u32_u24_e32 v2, 0x4ec5, v2
	s_wait_kmcnt 0x0
	s_barrier_signal -1
	v_lshrrev_b32_e32 v48, 18, v5
	v_lshrrev_b32_e32 v49, 18, v3
	v_mul_lo_u16 v7, v47, 13
	v_lshrrev_b32_e32 v50, 18, v2
	s_barrier_wait -1
	v_mul_lo_u16 v8, v48, 13
	v_mul_lo_u16 v9, v49, 13
	v_sub_nc_u16 v7, v54, v7
	v_mul_lo_u16 v10, v50, 13
	global_inv scope:SCOPE_SE
	v_sub_nc_u16 v8, v4, v8
	v_sub_nc_u16 v9, v0, v9
	v_and_b32_e32 v7, 0xff, v7
	v_sub_nc_u16 v10, v1, v10
	v_lshrrev_b16 v60, 11, v6
	v_and_b32_e32 v8, 0xffff, v8
	v_and_b32_e32 v9, 0xffff, v9
	v_lshlrev_b32_e32 v51, 4, v7
	v_and_b32_e32 v11, 0xffff, v10
	v_lshrrev_b32_e32 v61, 19, v3
	v_lshlrev_b32_e32 v55, 4, v8
	v_lshlrev_b32_e32 v58, 4, v9
	global_load_b128 v[7:10], v51, s[8:9]
	v_lshlrev_b32_e32 v59, 4, v11
	v_lshrrev_b32_e32 v62, 19, v2
	s_clause 0x2
	global_load_b128 v[11:14], v55, s[8:9]
	global_load_b128 v[15:18], v58, s[8:9]
	global_load_b128 v[19:22], v59, s[8:9]
	ds_load_b128 v[23:26], v82 offset:13312
	ds_load_b128 v[27:30], v82 offset:16640
	;; [unrolled: 1-line block ×4, first 2 shown]
	v_lshrrev_b16 v70, 12, v6
	v_lshrrev_b32_e32 v71, 20, v5
	v_lshrrev_b32_e32 v3, 22, v3
	;; [unrolled: 1-line block ×3, first 2 shown]
	s_delay_alu instid0(VALU_DEP_2) | instskip(NEXT) | instid1(VALU_DEP_2)
	v_mul_lo_u16 v3, 0xd0, v3
	v_mul_lo_u16 v2, 0xd0, v2
	s_wait_loadcnt_dscnt 0x303
	v_mul_f64_e32 v[39:40], v[25:26], v[9:10]
	v_mul_f64_e32 v[9:10], v[23:24], v[9:10]
	s_wait_loadcnt_dscnt 0x202
	v_mul_f64_e32 v[41:42], v[29:30], v[13:14]
	v_mul_f64_e32 v[13:14], v[27:28], v[13:14]
	;; [unrolled: 3-line block ×4, first 2 shown]
	v_fma_f64 v[23:24], v[23:24], v[7:8], v[39:40]
	v_fma_f64 v[25:26], v[25:26], v[7:8], -v[9:10]
	v_fma_f64 v[27:28], v[27:28], v[11:12], v[41:42]
	v_fma_f64 v[29:30], v[29:30], v[11:12], -v[13:14]
	;; [unrolled: 2-line block ×4, first 2 shown]
	ds_load_b128 v[7:10], v82
	ds_load_b128 v[11:14], v82 offset:3328
	ds_load_b128 v[15:18], v82 offset:6656
	;; [unrolled: 1-line block ×3, first 2 shown]
	v_and_b32_e32 v39, 0xffff, v47
	v_lshrrev_b32_e32 v47, 19, v5
	v_mul_lo_u16 v40, v60, 26
	v_mul_u32_u24_e32 v41, 0x1a0, v48
	v_mul_lo_u16 v43, v61, 26
	v_mul_lo_u16 v44, v62, 26
	;; [unrolled: 1-line block ×3, first 2 shown]
	v_sub_nc_u16 v40, v54, v40
	v_add3_u32 v41, 0, v41, v55
	v_mov_b32_e32 v55, 0
	v_mul_u32_u24_e32 v39, 0x1a0, v39
	v_sub_nc_u16 v42, v4, v42
	v_sub_nc_u16 v43, v0, v43
	v_and_b32_e32 v40, 0xff, v40
	v_sub_nc_u16 v44, v1, v44
	v_mul_u32_u24_e32 v45, 0x1a0, v49
	v_and_b32_e32 v42, 0xffff, v42
	v_mul_u32_u24_e32 v46, 0x1a0, v50
	v_and_b32_e32 v43, 0xffff, v43
	v_lshlrev_b32_e32 v48, 4, v40
	v_add3_u32 v39, 0, v39, v51
	v_and_b32_e32 v40, 0xffff, v44
	v_lshlrev_b32_e32 v49, 4, v42
	v_add3_u32 v42, 0, v45, v58
	v_lshlrev_b32_e32 v50, 4, v43
	global_wb scope:SCOPE_SE
	s_wait_dscnt 0x0
	s_barrier_signal -1
	s_barrier_wait -1
	global_inv scope:SCOPE_SE
	v_add_f64_e64 v[23:24], v[7:8], -v[23:24]
	v_add_f64_e64 v[25:26], v[9:10], -v[25:26]
	;; [unrolled: 1-line block ×8, first 2 shown]
	v_add3_u32 v43, 0, v46, v59
	v_lshlrev_b32_e32 v51, 4, v40
	v_sub_nc_u16 v0, v0, v3
	v_sub_nc_u16 v1, v1, v2
	s_delay_alu instid0(VALU_DEP_2) | instskip(NEXT) | instid1(VALU_DEP_2)
	v_and_b32_e32 v0, 0xffff, v0
	v_and_b32_e32 v1, 0xffff, v1
	v_fma_f64 v[7:8], v[7:8], 2.0, -v[23:24]
	v_fma_f64 v[9:10], v[9:10], 2.0, -v[25:26]
	;; [unrolled: 1-line block ×8, first 2 shown]
	ds_store_b128 v39, v[7:10]
	ds_store_b128 v39, v[23:26] offset:208
	ds_store_b128 v41, v[11:14]
	ds_store_b128 v41, v[27:30] offset:208
	;; [unrolled: 2-line block ×4, first 2 shown]
	global_wb scope:SCOPE_SE
	s_wait_dscnt 0x0
	s_barrier_signal -1
	s_barrier_wait -1
	global_inv scope:SCOPE_SE
	s_clause 0x3
	global_load_b128 v[7:10], v48, s[8:9] offset:208
	global_load_b128 v[11:14], v49, s[8:9] offset:208
	;; [unrolled: 1-line block ×4, first 2 shown]
	ds_load_b128 v[23:26], v82 offset:13312
	ds_load_b128 v[27:30], v82 offset:16640
	;; [unrolled: 1-line block ×4, first 2 shown]
	s_wait_loadcnt_dscnt 0x202
	v_mul_f64_e32 v[41:42], v[29:30], v[13:14]
	v_mul_f64_e32 v[39:40], v[25:26], v[9:10]
	;; [unrolled: 1-line block ×4, first 2 shown]
	s_wait_loadcnt_dscnt 0x101
	v_mul_f64_e32 v[43:44], v[33:34], v[17:18]
	v_mul_f64_e32 v[17:18], v[31:32], v[17:18]
	s_wait_loadcnt_dscnt 0x0
	v_mul_f64_e32 v[45:46], v[37:38], v[21:22]
	v_mul_f64_e32 v[21:22], v[35:36], v[21:22]
	v_fma_f64 v[27:28], v[27:28], v[11:12], v[41:42]
	v_fma_f64 v[23:24], v[23:24], v[7:8], v[39:40]
	v_fma_f64 v[25:26], v[25:26], v[7:8], -v[9:10]
	v_fma_f64 v[29:30], v[29:30], v[11:12], -v[13:14]
	v_fma_f64 v[31:32], v[31:32], v[15:16], v[43:44]
	v_fma_f64 v[33:34], v[33:34], v[15:16], -v[17:18]
	v_fma_f64 v[35:36], v[35:36], v[19:20], v[45:46]
	v_fma_f64 v[37:38], v[37:38], v[19:20], -v[21:22]
	ds_load_b128 v[7:10], v82
	ds_load_b128 v[11:14], v82 offset:3328
	ds_load_b128 v[15:18], v82 offset:6656
	;; [unrolled: 1-line block ×3, first 2 shown]
	v_and_b32_e32 v39, 0xffff, v60
	v_mul_u32_u24_e32 v40, 0x340, v62
	global_wb scope:SCOPE_SE
	s_wait_dscnt 0x0
	s_barrier_signal -1
	s_barrier_wait -1
	global_inv scope:SCOPE_SE
	v_add3_u32 v40, 0, v40, v51
	v_add_f64_e64 v[27:28], v[11:12], -v[27:28]
	v_add_f64_e64 v[23:24], v[7:8], -v[23:24]
	;; [unrolled: 1-line block ×8, first 2 shown]
	v_fma_f64 v[6:7], v[7:8], 2.0, -v[23:24]
	v_fma_f64 v[8:9], v[9:10], 2.0, -v[25:26]
	;; [unrolled: 1-line block ×8, first 2 shown]
	v_mul_lo_u16 v22, v70, 52
	s_delay_alu instid0(VALU_DEP_1) | instskip(SKIP_1) | instid1(VALU_DEP_2)
	v_sub_nc_u16 v5, v54, v22
	v_mul_lo_u16 v22, v71, 52
	v_and_b32_e32 v72, 0xff, v5
	s_delay_alu instid0(VALU_DEP_2) | instskip(SKIP_2) | instid1(VALU_DEP_4)
	v_sub_nc_u16 v4, v4, v22
	v_mul_u32_u24_e32 v5, 0x340, v39
	v_mul_u32_u24_e32 v22, 0x340, v47
	;; [unrolled: 1-line block ×3, first 2 shown]
	s_delay_alu instid0(VALU_DEP_4)
	v_and_b32_e32 v73, 0xffff, v4
	v_mul_u32_u24_e32 v4, 0x340, v61
	v_add3_u32 v5, 0, v5, v48
	v_add3_u32 v22, 0, v22, v49
	v_lshlrev_b32_e32 v39, 4, v39
	v_mul_u32_u24_e32 v41, 3, v73
	v_add3_u32 v4, 0, v4, v50
	ds_store_b128 v5, v[6:9]
	ds_store_b128 v5, v[23:26] offset:416
	ds_store_b128 v22, v[10:13]
	ds_store_b128 v22, v[27:30] offset:416
	;; [unrolled: 2-line block ×4, first 2 shown]
	v_lshlrev_b32_e32 v24, 4, v41
	global_wb scope:SCOPE_SE
	s_wait_dscnt 0x0
	s_barrier_signal -1
	s_barrier_wait -1
	global_inv scope:SCOPE_SE
	s_clause 0x5
	global_load_b128 v[4:7], v39, s[8:9] offset:624
	global_load_b128 v[8:11], v39, s[8:9] offset:640
	;; [unrolled: 1-line block ×6, first 2 shown]
	ds_load_b128 v[28:31], v82 offset:6656
	ds_load_b128 v[32:35], v82 offset:13312
	;; [unrolled: 1-line block ×6, first 2 shown]
	s_wait_loadcnt_dscnt 0x404
	v_mul_f64_e32 v[60:61], v[34:35], v[10:11]
	v_mul_f64_e32 v[10:11], v[32:33], v[10:11]
	s_wait_loadcnt_dscnt 0x303
	v_mul_f64_e32 v[62:63], v[38:39], v[14:15]
	v_mul_f64_e32 v[58:59], v[30:31], v[6:7]
	;; [unrolled: 1-line block ×4, first 2 shown]
	s_wait_loadcnt_dscnt 0x202
	v_mul_f64_e32 v[64:65], v[42:43], v[18:19]
	v_mul_f64_e32 v[18:19], v[40:41], v[18:19]
	s_wait_loadcnt_dscnt 0x101
	v_mul_f64_e32 v[66:67], v[46:47], v[22:23]
	v_mul_f64_e32 v[22:23], v[44:45], v[22:23]
	;; [unrolled: 3-line block ×3, first 2 shown]
	v_fma_f64 v[32:33], v[32:33], v[8:9], v[60:61]
	v_fma_f64 v[34:35], v[34:35], v[8:9], -v[10:11]
	v_fma_f64 v[36:37], v[36:37], v[12:13], v[62:63]
	v_fma_f64 v[28:29], v[28:29], v[4:5], v[58:59]
	v_fma_f64 v[30:31], v[30:31], v[4:5], -v[6:7]
	v_fma_f64 v[12:13], v[38:39], v[12:13], -v[14:15]
	v_fma_f64 v[14:15], v[40:41], v[16:17], v[64:65]
	v_fma_f64 v[16:17], v[42:43], v[16:17], -v[18:19]
	v_fma_f64 v[18:19], v[44:45], v[20:21], v[66:67]
	v_fma_f64 v[20:21], v[46:47], v[20:21], -v[22:23]
	v_fma_f64 v[22:23], v[48:49], v[24:25], v[68:69]
	v_fma_f64 v[24:25], v[50:51], v[24:25], -v[26:27]
	ds_load_b128 v[4:7], v82
	ds_load_b128 v[8:11], v82 offset:3328
	v_lshlrev_b32_e32 v48, 4, v0
	global_wb scope:SCOPE_SE
	s_wait_dscnt 0x0
	s_barrier_signal -1
	s_barrier_wait -1
	global_inv scope:SCOPE_SE
	v_lshlrev_b32_e32 v49, 4, v1
	v_add_f64_e64 v[26:27], v[4:5], -v[32:33]
	v_add_f64_e64 v[32:33], v[6:7], -v[34:35]
	;; [unrolled: 1-line block ×8, first 2 shown]
	v_fma_f64 v[40:41], v[4:5], 2.0, -v[26:27]
	v_fma_f64 v[42:43], v[6:7], 2.0, -v[32:33]
	;; [unrolled: 1-line block ×3, first 2 shown]
	v_add_f64_e64 v[6:7], v[32:33], -v[34:35]
	v_fma_f64 v[24:25], v[30:31], 2.0, -v[12:13]
	v_add_f64_e32 v[4:5], v[26:27], v[12:13]
	v_fma_f64 v[8:9], v[8:9], 2.0, -v[36:37]
	v_fma_f64 v[28:29], v[10:11], 2.0, -v[38:39]
	;; [unrolled: 1-line block ×4, first 2 shown]
	v_add_f64_e32 v[10:11], v[36:37], v[18:19]
	v_add_f64_e64 v[12:13], v[38:39], -v[22:23]
	v_add_f64_e64 v[14:15], v[40:41], -v[20:21]
	v_add_f64_e64 v[16:17], v[42:43], -v[24:25]
	v_fma_f64 v[24:25], v[32:33], 2.0, -v[6:7]
	v_fma_f64 v[22:23], v[26:27], 2.0, -v[4:5]
	v_add_f64_e64 v[18:19], v[8:9], -v[30:31]
	v_add_f64_e64 v[20:21], v[28:29], -v[44:45]
	v_fma_f64 v[26:27], v[36:37], 2.0, -v[10:11]
	v_fma_f64 v[30:31], v[40:41], 2.0, -v[14:15]
	v_lshlrev_b32_e32 v40, 4, v72
	v_fma_f64 v[32:33], v[42:43], 2.0, -v[16:17]
	v_lshlrev_b32_e32 v41, 4, v73
	v_fma_f64 v[34:35], v[8:9], 2.0, -v[18:19]
	v_fma_f64 v[36:37], v[28:29], 2.0, -v[20:21]
	v_fma_f64 v[28:29], v[38:39], 2.0, -v[12:13]
	v_and_b32_e32 v38, 0xffff, v70
	v_lshlrev_b64_e32 v[8:9], 4, v[54:55]
	v_mul_u32_u24_e32 v39, 0xd00, v71
	s_delay_alu instid0(VALU_DEP_3) | instskip(NEXT) | instid1(VALU_DEP_3)
	v_mul_u32_u24_e32 v38, 0xd00, v38
	v_add_co_u32 v2, s0, s8, v8
	s_wait_alu 0xf1ff
	s_delay_alu instid0(VALU_DEP_4) | instskip(NEXT) | instid1(VALU_DEP_3)
	v_add_co_ci_u32_e64 v3, s0, s9, v9, s0
	v_add3_u32 v38, 0, v38, v40
	v_add3_u32 v0, 0, v39, v41
	ds_store_b128 v38, v[14:17] offset:1664
	ds_store_b128 v38, v[4:7] offset:2496
	ds_store_b128 v38, v[30:33]
	ds_store_b128 v38, v[22:25] offset:832
	ds_store_b128 v0, v[34:37]
	ds_store_b128 v0, v[26:29] offset:832
	ds_store_b128 v0, v[18:21] offset:1664
	ds_store_b128 v0, v[10:13] offset:2496
	global_wb scope:SCOPE_SE
	s_wait_dscnt 0x0
	s_barrier_signal -1
	s_barrier_wait -1
	global_inv scope:SCOPE_SE
	s_clause 0x2
	global_load_b128 v[4:7], v[2:3], off offset:3120
	global_load_b128 v[10:13], v48, s[8:9] offset:3120
	global_load_b128 v[14:17], v49, s[8:9] offset:3120
	ds_load_b128 v[18:21], v82 offset:13312
	ds_load_b128 v[22:25], v82 offset:16640
	;; [unrolled: 1-line block ×4, first 2 shown]
	v_cmp_ne_u32_e64 s0, 0, v54
	s_wait_loadcnt_dscnt 0x101
	v_mul_f64_e32 v[38:39], v[28:29], v[12:13]
	v_mul_f64_e32 v[0:1], v[20:21], v[6:7]
	;; [unrolled: 1-line block ×6, first 2 shown]
	s_wait_loadcnt_dscnt 0x0
	v_mul_f64_e32 v[40:41], v[32:33], v[16:17]
	v_mul_f64_e32 v[16:17], v[30:31], v[16:17]
	v_fma_f64 v[38:39], v[26:27], v[10:11], v[38:39]
	v_fma_f64 v[0:1], v[18:19], v[4:5], v[0:1]
	v_fma_f64 v[34:35], v[20:21], v[4:5], -v[34:35]
	v_fma_f64 v[36:37], v[22:23], v[4:5], v[36:37]
	v_fma_f64 v[42:43], v[24:25], v[4:5], -v[6:7]
	v_fma_f64 v[44:45], v[28:29], v[10:11], -v[12:13]
	v_fma_f64 v[40:41], v[30:31], v[14:15], v[40:41]
	v_fma_f64 v[46:47], v[32:33], v[14:15], -v[16:17]
	ds_load_b128 v[4:7], v82
	ds_load_b128 v[10:13], v82 offset:3328
	ds_load_b128 v[14:17], v82 offset:6656
	;; [unrolled: 1-line block ×3, first 2 shown]
	global_wb scope:SCOPE_SE
	s_wait_dscnt 0x0
	s_barrier_signal -1
	s_barrier_wait -1
	global_inv scope:SCOPE_SE
	v_add_f64_e64 v[30:31], v[14:15], -v[38:39]
	v_add_f64_e64 v[22:23], v[4:5], -v[0:1]
	;; [unrolled: 1-line block ×8, first 2 shown]
	v_add_nc_u32_e32 v0, 0, v48
	v_add_nc_u32_e32 v1, 0, v49
	v_fma_f64 v[14:15], v[14:15], 2.0, -v[30:31]
	v_fma_f64 v[4:5], v[4:5], 2.0, -v[22:23]
	;; [unrolled: 1-line block ×8, first 2 shown]
	ds_store_b128 v82, v[4:7]
	ds_store_b128 v82, v[22:25] offset:3328
	ds_store_b128 v82, v[10:13] offset:6656
	;; [unrolled: 1-line block ×7, first 2 shown]
	global_wb scope:SCOPE_SE
	s_wait_dscnt 0x0
	s_barrier_signal -1
	s_barrier_wait -1
	global_inv scope:SCOPE_SE
	s_clause 0x1
	global_load_b128 v[4:7], v[2:3], off offset:6448
	global_load_b128 v[10:13], v[2:3], off offset:9776
	ds_load_b128 v[14:17], v82 offset:13312
	ds_load_b128 v[18:21], v82 offset:16640
	;; [unrolled: 1-line block ×4, first 2 shown]
	s_wait_loadcnt_dscnt 0x103
	v_mul_f64_e32 v[0:1], v[16:17], v[6:7]
	v_mul_f64_e32 v[30:31], v[14:15], v[6:7]
	s_wait_loadcnt_dscnt 0x2
	v_mul_f64_e32 v[32:33], v[20:21], v[12:13]
	v_mul_f64_e32 v[34:35], v[18:19], v[12:13]
	s_wait_dscnt 0x1
	v_mul_f64_e32 v[36:37], v[24:25], v[6:7]
	v_mul_f64_e32 v[6:7], v[22:23], v[6:7]
	s_wait_dscnt 0x0
	v_mul_f64_e32 v[38:39], v[28:29], v[12:13]
	v_mul_f64_e32 v[12:13], v[26:27], v[12:13]
	v_fma_f64 v[0:1], v[14:15], v[4:5], v[0:1]
	v_fma_f64 v[30:31], v[16:17], v[4:5], -v[30:31]
	v_fma_f64 v[32:33], v[18:19], v[10:11], v[32:33]
	v_fma_f64 v[34:35], v[20:21], v[10:11], -v[34:35]
	;; [unrolled: 2-line block ×4, first 2 shown]
	ds_load_b128 v[4:7], v82
	ds_load_b128 v[10:13], v82 offset:3328
	ds_load_b128 v[14:17], v82 offset:6656
	;; [unrolled: 1-line block ×3, first 2 shown]
	global_wb scope:SCOPE_SE
	s_wait_dscnt 0x0
	s_barrier_signal -1
	s_barrier_wait -1
	global_inv scope:SCOPE_SE
	v_add_f64_e64 v[22:23], v[4:5], -v[0:1]
	v_add_f64_e64 v[24:25], v[6:7], -v[30:31]
	;; [unrolled: 1-line block ×8, first 2 shown]
	v_fma_f64 v[4:5], v[4:5], 2.0, -v[22:23]
	v_fma_f64 v[6:7], v[6:7], 2.0, -v[24:25]
	;; [unrolled: 1-line block ×8, first 2 shown]
	ds_store_b128 v82, v[22:25] offset:6656
	ds_store_b128 v82, v[26:29] offset:9984
	;; [unrolled: 1-line block ×4, first 2 shown]
	ds_store_b128 v82, v[4:7]
	ds_store_b128 v82, v[10:13] offset:3328
	ds_store_b128 v82, v[14:17] offset:13312
	;; [unrolled: 1-line block ×3, first 2 shown]
	global_wb scope:SCOPE_SE
	s_wait_dscnt 0x0
	s_barrier_signal -1
	s_barrier_wait -1
	global_inv scope:SCOPE_SE
	s_clause 0x3
	global_load_b128 v[4:7], v[2:3], off offset:13104
	global_load_b128 v[10:13], v[2:3], off offset:16432
	;; [unrolled: 1-line block ×4, first 2 shown]
	ds_load_b128 v[22:25], v82 offset:13312
	ds_load_b128 v[26:29], v82 offset:16640
	;; [unrolled: 1-line block ×4, first 2 shown]
	s_wait_loadcnt_dscnt 0x303
	v_mul_f64_e32 v[0:1], v[24:25], v[6:7]
	v_mul_f64_e32 v[6:7], v[22:23], v[6:7]
	s_wait_loadcnt_dscnt 0x202
	v_mul_f64_e32 v[38:39], v[28:29], v[12:13]
	v_mul_f64_e32 v[12:13], v[26:27], v[12:13]
	s_wait_loadcnt_dscnt 0x101
	v_mul_f64_e32 v[40:41], v[32:33], v[16:17]
	v_mul_f64_e32 v[16:17], v[30:31], v[16:17]
	s_wait_loadcnt_dscnt 0x0
	v_mul_f64_e32 v[42:43], v[36:37], v[20:21]
	v_mul_f64_e32 v[20:21], v[34:35], v[20:21]
	v_fma_f64 v[0:1], v[22:23], v[4:5], v[0:1]
	v_fma_f64 v[24:25], v[24:25], v[4:5], -v[6:7]
	v_fma_f64 v[26:27], v[26:27], v[10:11], v[38:39]
	v_fma_f64 v[28:29], v[28:29], v[10:11], -v[12:13]
	;; [unrolled: 2-line block ×4, first 2 shown]
	ds_load_b128 v[4:7], v82
	ds_load_b128 v[10:13], v82 offset:3328
	ds_load_b128 v[14:17], v82 offset:6656
	;; [unrolled: 1-line block ×3, first 2 shown]
	global_wb scope:SCOPE_SE
	s_wait_dscnt 0x0
	s_barrier_signal -1
	s_barrier_wait -1
	global_inv scope:SCOPE_SE
	v_add_f64_e64 v[22:23], v[4:5], -v[0:1]
	v_add_f64_e64 v[24:25], v[6:7], -v[24:25]
	;; [unrolled: 1-line block ×8, first 2 shown]
	v_lshlrev_b32_e32 v0, 4, v54
	v_fma_f64 v[4:5], v[4:5], 2.0, -v[22:23]
	v_fma_f64 v[6:7], v[6:7], 2.0, -v[24:25]
	;; [unrolled: 1-line block ×8, first 2 shown]
	ds_store_b128 v82, v[22:25] offset:13312
	ds_store_b128 v82, v[26:29] offset:16640
	;; [unrolled: 1-line block ×4, first 2 shown]
	ds_store_b128 v82, v[4:7]
	ds_store_b128 v82, v[10:13] offset:3328
	ds_store_b128 v82, v[14:17] offset:6656
	;; [unrolled: 1-line block ×3, first 2 shown]
	global_wb scope:SCOPE_SE
	s_wait_dscnt 0x0
	s_barrier_signal -1
	s_barrier_wait -1
	global_inv scope:SCOPE_SE
	ds_load_b128 v[4:7], v82
	v_sub_nc_u32_e32 v14, 0, v0
                                        ; implicit-def: $vgpr0_vgpr1
                                        ; implicit-def: $vgpr10_vgpr11
                                        ; implicit-def: $vgpr12_vgpr13
	s_and_saveexec_b32 s1, s0
	s_wait_alu 0xfffe
	s_xor_b32 s0, exec_lo, s1
	s_cbranch_execz .LBB0_17
; %bb.16:
	global_load_b128 v[15:18], v[2:3], off offset:26416
	ds_load_b128 v[0:3], v14 offset:26624
	s_wait_dscnt 0x0
	v_add_f64_e64 v[10:11], v[4:5], -v[0:1]
	v_add_f64_e32 v[12:13], v[6:7], v[2:3]
	v_add_f64_e64 v[2:3], v[6:7], -v[2:3]
	v_add_f64_e32 v[0:1], v[4:5], v[0:1]
	s_delay_alu instid0(VALU_DEP_4) | instskip(NEXT) | instid1(VALU_DEP_4)
	v_mul_f64_e32 v[6:7], 0.5, v[10:11]
	v_mul_f64_e32 v[4:5], 0.5, v[12:13]
	s_delay_alu instid0(VALU_DEP_4) | instskip(SKIP_1) | instid1(VALU_DEP_3)
	v_mul_f64_e32 v[2:3], 0.5, v[2:3]
	s_wait_loadcnt 0x0
	v_mul_f64_e32 v[10:11], v[6:7], v[17:18]
	s_delay_alu instid0(VALU_DEP_2) | instskip(SKIP_1) | instid1(VALU_DEP_3)
	v_fma_f64 v[12:13], v[4:5], v[17:18], v[2:3]
	v_fma_f64 v[2:3], v[4:5], v[17:18], -v[2:3]
	v_fma_f64 v[19:20], v[0:1], 0.5, v[10:11]
	v_fma_f64 v[0:1], v[0:1], 0.5, -v[10:11]
	s_delay_alu instid0(VALU_DEP_4) | instskip(NEXT) | instid1(VALU_DEP_4)
	v_fma_f64 v[12:13], -v[15:16], v[6:7], v[12:13]
	v_fma_f64 v[2:3], -v[15:16], v[6:7], v[2:3]
	s_delay_alu instid0(VALU_DEP_4) | instskip(NEXT) | instid1(VALU_DEP_4)
	v_fma_f64 v[10:11], v[4:5], v[15:16], v[19:20]
	v_fma_f64 v[0:1], -v[4:5], v[15:16], v[0:1]
                                        ; implicit-def: $vgpr4_vgpr5
.LBB0_17:
	s_wait_alu 0xfffe
	s_and_not1_saveexec_b32 s0, s0
	s_cbranch_execz .LBB0_19
; %bb.18:
	s_wait_dscnt 0x0
	v_add_f64_e32 v[10:11], v[4:5], v[6:7]
	v_add_f64_e64 v[0:1], v[4:5], -v[6:7]
	v_mov_b32_e32 v6, 0
	v_mov_b32_e32 v12, 0
	;; [unrolled: 1-line block ×3, first 2 shown]
	s_delay_alu instid0(VALU_DEP_2)
	v_mov_b32_e32 v2, v12
	ds_load_b64 v[4:5], v6 offset:13320
	v_mov_b32_e32 v3, v13
	s_wait_dscnt 0x0
	v_xor_b32_e32 v5, 0x80000000, v5
	ds_store_b64 v6, v[4:5] offset:13320
.LBB0_19:
	s_wait_alu 0xfffe
	s_or_b32 exec_lo, exec_lo, s0
	s_add_nc_u64 s[0:1], s[8:9], 0x6730
	s_wait_alu 0xfffe
	v_add_co_u32 v19, s0, s0, v8
	s_wait_alu 0xf1ff
	v_add_co_ci_u32_e64 v20, s0, s1, v9, s0
	s_wait_dscnt 0x0
	s_clause 0x1
	global_load_b128 v[4:7], v[19:20], off offset:3328
	global_load_b128 v[15:18], v[19:20], off offset:6656
	ds_store_2addr_b64 v82, v[10:11], v[12:13] offset1:1
	ds_store_b128 v14, v[0:3] offset:26624
	ds_load_b128 v[0:3], v82 offset:3328
	ds_load_b128 v[8:11], v14 offset:23296
	s_wait_dscnt 0x0
	v_add_f64_e64 v[12:13], v[0:1], -v[8:9]
	v_add_f64_e32 v[21:22], v[2:3], v[10:11]
	v_add_f64_e64 v[2:3], v[2:3], -v[10:11]
	v_add_f64_e32 v[0:1], v[0:1], v[8:9]
	s_delay_alu instid0(VALU_DEP_4) | instskip(NEXT) | instid1(VALU_DEP_4)
	v_mul_f64_e32 v[10:11], 0.5, v[12:13]
	v_mul_f64_e32 v[12:13], 0.5, v[21:22]
	s_delay_alu instid0(VALU_DEP_4) | instskip(SKIP_1) | instid1(VALU_DEP_3)
	v_mul_f64_e32 v[2:3], 0.5, v[2:3]
	s_wait_loadcnt 0x1
	v_mul_f64_e32 v[8:9], v[10:11], v[6:7]
	s_delay_alu instid0(VALU_DEP_2) | instskip(SKIP_1) | instid1(VALU_DEP_3)
	v_fma_f64 v[21:22], v[12:13], v[6:7], v[2:3]
	v_fma_f64 v[2:3], v[12:13], v[6:7], -v[2:3]
	v_fma_f64 v[6:7], v[0:1], 0.5, v[8:9]
	v_fma_f64 v[0:1], v[0:1], 0.5, -v[8:9]
	s_delay_alu instid0(VALU_DEP_4) | instskip(NEXT) | instid1(VALU_DEP_4)
	v_fma_f64 v[8:9], -v[4:5], v[10:11], v[21:22]
	v_fma_f64 v[2:3], -v[4:5], v[10:11], v[2:3]
	s_delay_alu instid0(VALU_DEP_4) | instskip(NEXT) | instid1(VALU_DEP_4)
	v_fma_f64 v[10:11], v[12:13], v[4:5], v[6:7]
	v_fma_f64 v[0:1], -v[12:13], v[4:5], v[0:1]
	global_load_b128 v[4:7], v[19:20], off offset:9984
	v_add_nc_u32_e32 v12, 0x800, v82
	ds_store_2addr_b64 v12, v[10:11], v[8:9] offset0:160 offset1:161
	ds_store_b128 v14, v[0:3] offset:23296
	ds_load_b128 v[0:3], v82 offset:6656
	ds_load_b128 v[8:11], v14 offset:19968
	s_wait_dscnt 0x0
	v_add_f64_e64 v[12:13], v[0:1], -v[8:9]
	v_add_f64_e32 v[19:20], v[2:3], v[10:11]
	v_add_f64_e64 v[2:3], v[2:3], -v[10:11]
	v_add_f64_e32 v[0:1], v[0:1], v[8:9]
	s_delay_alu instid0(VALU_DEP_4) | instskip(NEXT) | instid1(VALU_DEP_4)
	v_mul_f64_e32 v[10:11], 0.5, v[12:13]
	v_mul_f64_e32 v[12:13], 0.5, v[19:20]
	s_delay_alu instid0(VALU_DEP_4) | instskip(SKIP_1) | instid1(VALU_DEP_3)
	v_mul_f64_e32 v[2:3], 0.5, v[2:3]
	s_wait_loadcnt 0x1
	v_mul_f64_e32 v[8:9], v[10:11], v[17:18]
	s_delay_alu instid0(VALU_DEP_2) | instskip(SKIP_1) | instid1(VALU_DEP_3)
	v_fma_f64 v[19:20], v[12:13], v[17:18], v[2:3]
	v_fma_f64 v[2:3], v[12:13], v[17:18], -v[2:3]
	v_fma_f64 v[17:18], v[0:1], 0.5, v[8:9]
	v_fma_f64 v[0:1], v[0:1], 0.5, -v[8:9]
	s_delay_alu instid0(VALU_DEP_4) | instskip(NEXT) | instid1(VALU_DEP_4)
	v_fma_f64 v[8:9], -v[15:16], v[10:11], v[19:20]
	v_fma_f64 v[2:3], -v[15:16], v[10:11], v[2:3]
	s_delay_alu instid0(VALU_DEP_4) | instskip(NEXT) | instid1(VALU_DEP_4)
	v_fma_f64 v[10:11], v[12:13], v[15:16], v[17:18]
	v_fma_f64 v[0:1], -v[12:13], v[15:16], v[0:1]
	v_add_nc_u32_e32 v12, 0x1800, v82
	ds_store_2addr_b64 v12, v[10:11], v[8:9] offset0:64 offset1:65
	ds_store_b128 v14, v[0:3] offset:19968
	ds_load_b128 v[0:3], v82 offset:9984
	ds_load_b128 v[8:11], v14 offset:16640
	s_wait_dscnt 0x0
	v_add_f64_e64 v[12:13], v[0:1], -v[8:9]
	v_add_f64_e32 v[15:16], v[2:3], v[10:11]
	v_add_f64_e64 v[2:3], v[2:3], -v[10:11]
	v_add_f64_e32 v[0:1], v[0:1], v[8:9]
	s_delay_alu instid0(VALU_DEP_4) | instskip(NEXT) | instid1(VALU_DEP_4)
	v_mul_f64_e32 v[10:11], 0.5, v[12:13]
	v_mul_f64_e32 v[12:13], 0.5, v[15:16]
	s_delay_alu instid0(VALU_DEP_4) | instskip(SKIP_1) | instid1(VALU_DEP_3)
	v_mul_f64_e32 v[2:3], 0.5, v[2:3]
	s_wait_loadcnt 0x0
	v_mul_f64_e32 v[8:9], v[10:11], v[6:7]
	s_delay_alu instid0(VALU_DEP_2) | instskip(SKIP_1) | instid1(VALU_DEP_3)
	v_fma_f64 v[15:16], v[12:13], v[6:7], v[2:3]
	v_fma_f64 v[2:3], v[12:13], v[6:7], -v[2:3]
	v_fma_f64 v[6:7], v[0:1], 0.5, v[8:9]
	v_fma_f64 v[0:1], v[0:1], 0.5, -v[8:9]
	s_delay_alu instid0(VALU_DEP_4) | instskip(NEXT) | instid1(VALU_DEP_4)
	v_fma_f64 v[8:9], -v[4:5], v[10:11], v[15:16]
	v_fma_f64 v[2:3], -v[4:5], v[10:11], v[2:3]
	s_delay_alu instid0(VALU_DEP_4) | instskip(NEXT) | instid1(VALU_DEP_4)
	v_fma_f64 v[6:7], v[12:13], v[4:5], v[6:7]
	v_fma_f64 v[0:1], -v[12:13], v[4:5], v[0:1]
	v_add_nc_u32_e32 v4, 0x2000, v82
	ds_store_2addr_b64 v4, v[6:7], v[8:9] offset0:224 offset1:225
	ds_store_b128 v14, v[0:3] offset:16640
	global_wb scope:SCOPE_SE
	s_wait_dscnt 0x0
	s_barrier_signal -1
	s_barrier_wait -1
	global_inv scope:SCOPE_SE
	s_and_saveexec_b32 s0, vcc_lo
	s_cbranch_execz .LBB0_22
; %bb.20:
	v_mul_lo_u32 v2, s3, v56
	v_mul_lo_u32 v3, s2, v57
	v_mad_co_u64_u32 v[0:1], null, s2, v56, 0
	v_dual_mov_b32 v55, 0 :: v_dual_add_nc_u32 v12, 0xd0, v54
	v_lshlrev_b64_e32 v[10:11], 4, v[52:53]
	v_lshl_add_u32 v28, v54, 4, 0
	s_delay_alu instid0(VALU_DEP_3)
	v_dual_mov_b32 v13, v55 :: v_dual_add_nc_u32 v14, 0x1a0, v54
	v_add3_u32 v1, v1, v3, v2
	v_lshlrev_b64_e32 v[16:17], 4, v[54:55]
	v_dual_mov_b32 v15, v55 :: v_dual_add_nc_u32 v24, 0x270, v54
	ds_load_b128 v[2:5], v28
	ds_load_b128 v[6:9], v28 offset:3328
	v_lshlrev_b64_e32 v[0:1], 4, v[0:1]
	v_lshlrev_b64_e32 v[18:19], 4, v[12:13]
	;; [unrolled: 1-line block ×3, first 2 shown]
	v_dual_mov_b32 v25, v55 :: v_dual_add_nc_u32 v26, 0x340, v54
	v_mov_b32_e32 v27, v55
	v_add_co_u32 v0, vcc_lo, s6, v0
	s_wait_alu 0xfffd
	v_add_co_ci_u32_e32 v1, vcc_lo, s7, v1, vcc_lo
	v_lshlrev_b64_e32 v[24:25], 4, v[24:25]
	s_delay_alu instid0(VALU_DEP_3) | instskip(SKIP_1) | instid1(VALU_DEP_3)
	v_add_co_u32 v0, vcc_lo, v0, v10
	s_wait_alu 0xfffd
	v_add_co_ci_u32_e32 v1, vcc_lo, v1, v11, vcc_lo
	s_delay_alu instid0(VALU_DEP_2) | instskip(SKIP_1) | instid1(VALU_DEP_2)
	v_add_co_u32 v22, vcc_lo, v0, v16
	s_wait_alu 0xfffd
	v_add_co_ci_u32_e32 v23, vcc_lo, v1, v17, vcc_lo
	ds_load_b128 v[10:13], v28 offset:6656
	ds_load_b128 v[14:17], v28 offset:9984
	v_add_co_u32 v18, vcc_lo, v0, v18
	s_wait_alu 0xfffd
	v_add_co_ci_u32_e32 v19, vcc_lo, v1, v19, vcc_lo
	v_add_co_u32 v20, vcc_lo, v0, v20
	s_wait_alu 0xfffd
	v_add_co_ci_u32_e32 v21, vcc_lo, v1, v21, vcc_lo
	;; [unrolled: 3-line block ×3, first 2 shown]
	s_wait_dscnt 0x3
	global_store_b128 v[22:23], v[2:5], off
	s_wait_dscnt 0x2
	global_store_b128 v[18:19], v[6:9], off
	;; [unrolled: 2-line block ×4, first 2 shown]
	v_add_nc_u32_e32 v10, 0x410, v54
	v_lshlrev_b64_e32 v[2:3], 4, v[26:27]
	v_dual_mov_b32 v11, v55 :: v_dual_add_nc_u32 v12, 0x4e0, v54
	v_dual_mov_b32 v13, v55 :: v_dual_add_nc_u32 v24, 0x5b0, v54
	v_mov_b32_e32 v25, v55
	s_delay_alu instid0(VALU_DEP_4)
	v_add_co_u32 v18, vcc_lo, v0, v2
	s_wait_alu 0xfffd
	v_add_co_ci_u32_e32 v19, vcc_lo, v1, v3, vcc_lo
	ds_load_b128 v[2:5], v28 offset:13312
	ds_load_b128 v[6:9], v28 offset:16640
	v_lshlrev_b64_e32 v[20:21], 4, v[10:11]
	v_lshlrev_b64_e32 v[22:23], 4, v[12:13]
	ds_load_b128 v[10:13], v28 offset:19968
	ds_load_b128 v[14:17], v28 offset:23296
	v_lshlrev_b64_e32 v[24:25], 4, v[24:25]
	v_add_co_u32 v20, vcc_lo, v0, v20
	s_wait_alu 0xfffd
	v_add_co_ci_u32_e32 v21, vcc_lo, v1, v21, vcc_lo
	v_add_co_u32 v22, vcc_lo, v0, v22
	s_wait_alu 0xfffd
	v_add_co_ci_u32_e32 v23, vcc_lo, v1, v23, vcc_lo
	;; [unrolled: 3-line block ×3, first 2 shown]
	v_cmp_eq_u32_e32 vcc_lo, 0xcf, v54
	s_wait_dscnt 0x3
	global_store_b128 v[18:19], v[2:5], off
	s_wait_dscnt 0x2
	global_store_b128 v[20:21], v[6:9], off
	s_wait_dscnt 0x1
	global_store_b128 v[22:23], v[10:13], off
	s_wait_dscnt 0x0
	global_store_b128 v[24:25], v[14:17], off
	s_and_b32 exec_lo, exec_lo, vcc_lo
	s_cbranch_execz .LBB0_22
; %bb.21:
	ds_load_b128 v[2:5], v55 offset:26624
	s_wait_dscnt 0x0
	global_store_b128 v[0:1], v[2:5], off offset:26624
.LBB0_22:
	s_nop 0
	s_sendmsg sendmsg(MSG_DEALLOC_VGPRS)
	s_endpgm
	.section	.rodata,"a",@progbits
	.p2align	6, 0x0
	.amdhsa_kernel fft_rtc_back_len1664_factors_13_2_2_4_2_2_2_wgs_208_tpt_208_halfLds_dp_op_CI_CI_unitstride_sbrr_R2C_dirReg
		.amdhsa_group_segment_fixed_size 0
		.amdhsa_private_segment_fixed_size 0
		.amdhsa_kernarg_size 104
		.amdhsa_user_sgpr_count 2
		.amdhsa_user_sgpr_dispatch_ptr 0
		.amdhsa_user_sgpr_queue_ptr 0
		.amdhsa_user_sgpr_kernarg_segment_ptr 1
		.amdhsa_user_sgpr_dispatch_id 0
		.amdhsa_user_sgpr_private_segment_size 0
		.amdhsa_wavefront_size32 1
		.amdhsa_uses_dynamic_stack 0
		.amdhsa_enable_private_segment 0
		.amdhsa_system_sgpr_workgroup_id_x 1
		.amdhsa_system_sgpr_workgroup_id_y 0
		.amdhsa_system_sgpr_workgroup_id_z 0
		.amdhsa_system_sgpr_workgroup_info 0
		.amdhsa_system_vgpr_workitem_id 0
		.amdhsa_next_free_vgpr 209
		.amdhsa_next_free_sgpr 40
		.amdhsa_reserve_vcc 1
		.amdhsa_float_round_mode_32 0
		.amdhsa_float_round_mode_16_64 0
		.amdhsa_float_denorm_mode_32 3
		.amdhsa_float_denorm_mode_16_64 3
		.amdhsa_fp16_overflow 0
		.amdhsa_workgroup_processor_mode 1
		.amdhsa_memory_ordered 1
		.amdhsa_forward_progress 0
		.amdhsa_round_robin_scheduling 0
		.amdhsa_exception_fp_ieee_invalid_op 0
		.amdhsa_exception_fp_denorm_src 0
		.amdhsa_exception_fp_ieee_div_zero 0
		.amdhsa_exception_fp_ieee_overflow 0
		.amdhsa_exception_fp_ieee_underflow 0
		.amdhsa_exception_fp_ieee_inexact 0
		.amdhsa_exception_int_div_zero 0
	.end_amdhsa_kernel
	.text
.Lfunc_end0:
	.size	fft_rtc_back_len1664_factors_13_2_2_4_2_2_2_wgs_208_tpt_208_halfLds_dp_op_CI_CI_unitstride_sbrr_R2C_dirReg, .Lfunc_end0-fft_rtc_back_len1664_factors_13_2_2_4_2_2_2_wgs_208_tpt_208_halfLds_dp_op_CI_CI_unitstride_sbrr_R2C_dirReg
                                        ; -- End function
	.section	.AMDGPU.csdata,"",@progbits
; Kernel info:
; codeLenInByte = 9968
; NumSgprs: 42
; NumVgprs: 209
; ScratchSize: 0
; MemoryBound: 0
; FloatMode: 240
; IeeeMode: 1
; LDSByteSize: 0 bytes/workgroup (compile time only)
; SGPRBlocks: 5
; VGPRBlocks: 26
; NumSGPRsForWavesPerEU: 42
; NumVGPRsForWavesPerEU: 209
; Occupancy: 7
; WaveLimiterHint : 1
; COMPUTE_PGM_RSRC2:SCRATCH_EN: 0
; COMPUTE_PGM_RSRC2:USER_SGPR: 2
; COMPUTE_PGM_RSRC2:TRAP_HANDLER: 0
; COMPUTE_PGM_RSRC2:TGID_X_EN: 1
; COMPUTE_PGM_RSRC2:TGID_Y_EN: 0
; COMPUTE_PGM_RSRC2:TGID_Z_EN: 0
; COMPUTE_PGM_RSRC2:TIDIG_COMP_CNT: 0
	.text
	.p2alignl 7, 3214868480
	.fill 96, 4, 3214868480
	.type	__hip_cuid_78f182d232d5f385,@object ; @__hip_cuid_78f182d232d5f385
	.section	.bss,"aw",@nobits
	.globl	__hip_cuid_78f182d232d5f385
__hip_cuid_78f182d232d5f385:
	.byte	0                               ; 0x0
	.size	__hip_cuid_78f182d232d5f385, 1

	.ident	"AMD clang version 19.0.0git (https://github.com/RadeonOpenCompute/llvm-project roc-6.4.0 25133 c7fe45cf4b819c5991fe208aaa96edf142730f1d)"
	.section	".note.GNU-stack","",@progbits
	.addrsig
	.addrsig_sym __hip_cuid_78f182d232d5f385
	.amdgpu_metadata
---
amdhsa.kernels:
  - .args:
      - .actual_access:  read_only
        .address_space:  global
        .offset:         0
        .size:           8
        .value_kind:     global_buffer
      - .offset:         8
        .size:           8
        .value_kind:     by_value
      - .actual_access:  read_only
        .address_space:  global
        .offset:         16
        .size:           8
        .value_kind:     global_buffer
      - .actual_access:  read_only
        .address_space:  global
        .offset:         24
        .size:           8
        .value_kind:     global_buffer
      - .actual_access:  read_only
        .address_space:  global
        .offset:         32
        .size:           8
        .value_kind:     global_buffer
      - .offset:         40
        .size:           8
        .value_kind:     by_value
      - .actual_access:  read_only
        .address_space:  global
        .offset:         48
        .size:           8
        .value_kind:     global_buffer
      - .actual_access:  read_only
        .address_space:  global
        .offset:         56
        .size:           8
        .value_kind:     global_buffer
      - .offset:         64
        .size:           4
        .value_kind:     by_value
      - .actual_access:  read_only
        .address_space:  global
        .offset:         72
        .size:           8
        .value_kind:     global_buffer
      - .actual_access:  read_only
        .address_space:  global
        .offset:         80
        .size:           8
        .value_kind:     global_buffer
      - .actual_access:  read_only
        .address_space:  global
        .offset:         88
        .size:           8
        .value_kind:     global_buffer
      - .actual_access:  write_only
        .address_space:  global
        .offset:         96
        .size:           8
        .value_kind:     global_buffer
    .group_segment_fixed_size: 0
    .kernarg_segment_align: 8
    .kernarg_segment_size: 104
    .language:       OpenCL C
    .language_version:
      - 2
      - 0
    .max_flat_workgroup_size: 208
    .name:           fft_rtc_back_len1664_factors_13_2_2_4_2_2_2_wgs_208_tpt_208_halfLds_dp_op_CI_CI_unitstride_sbrr_R2C_dirReg
    .private_segment_fixed_size: 0
    .sgpr_count:     42
    .sgpr_spill_count: 0
    .symbol:         fft_rtc_back_len1664_factors_13_2_2_4_2_2_2_wgs_208_tpt_208_halfLds_dp_op_CI_CI_unitstride_sbrr_R2C_dirReg.kd
    .uniform_work_group_size: 1
    .uses_dynamic_stack: false
    .vgpr_count:     209
    .vgpr_spill_count: 0
    .wavefront_size: 32
    .workgroup_processor_mode: 1
amdhsa.target:   amdgcn-amd-amdhsa--gfx1201
amdhsa.version:
  - 1
  - 2
...

	.end_amdgpu_metadata
